;; amdgpu-corpus repo=ROCm/rocFFT kind=compiled arch=gfx906 opt=O3
	.text
	.amdgcn_target "amdgcn-amd-amdhsa--gfx906"
	.amdhsa_code_object_version 6
	.protected	bluestein_single_fwd_len13_dim1_sp_op_CI_CI ; -- Begin function bluestein_single_fwd_len13_dim1_sp_op_CI_CI
	.globl	bluestein_single_fwd_len13_dim1_sp_op_CI_CI
	.p2align	8
	.type	bluestein_single_fwd_len13_dim1_sp_op_CI_CI,@function
bluestein_single_fwd_len13_dim1_sp_op_CI_CI: ; @bluestein_single_fwd_len13_dim1_sp_op_CI_CI
; %bb.0:
	s_load_dwordx4 s[12:15], s[4:5], 0x28
	v_lshl_or_b32 v1, s6, 6, v0
	v_mov_b32_e32 v2, 0
	s_waitcnt lgkmcnt(0)
	v_cmp_gt_u64_e32 vcc, s[12:13], v[1:2]
	s_and_saveexec_b64 s[0:1], vcc
	s_cbranch_execz .LBB0_2
; %bb.1:
	s_load_dwordx4 s[0:3], s[4:5], 0x18
	v_mov_b32_e32 v5, s15
	v_mul_u32_u24_e32 v0, 0x68, v0
	s_mov_b32 s26, 0x3f62ad3f
	s_mov_b32 s25, 0x3f116cb1
	s_waitcnt lgkmcnt(0)
	s_load_dwordx4 s[8:11], s[0:1], 0x0
	s_mov_b32 s24, 0x3df6dbef
	s_mov_b32 s27, 0xbeb58ec6
	;; [unrolled: 1-line block ×4, first 2 shown]
	s_waitcnt lgkmcnt(0)
	v_mad_u64_u32 v[2:3], s[0:1], s10, v1, 0
	s_lshl_b64 s[0:1], s[8:9], 3
	v_mov_b32_e32 v7, s1
	v_mad_u64_u32 v[3:4], s[10:11], s11, v1, v[3:4]
	s_lshl_b64 s[6:7], s[8:9], 4
	v_mov_b32_e32 v10, s7
	v_lshlrev_b64 v[2:3], 3, v[2:3]
	s_lshl_b64 s[10:11], s[8:9], 5
	v_add_co_u32_e32 v2, vcc, s14, v2
	v_addc_co_u32_e32 v3, vcc, v5, v3, vcc
	v_mad_u64_u32 v[4:5], s[12:13], s8, 24, v[2:3]
	v_add_co_u32_e32 v6, vcc, s0, v2
	v_mad_u64_u32 v[8:9], s[0:1], s9, 24, v[5:6]
	v_addc_co_u32_e32 v7, vcc, v3, v7, vcc
	v_add_co_u32_e32 v9, vcc, s6, v2
	v_addc_co_u32_e32 v10, vcc, v3, v10, vcc
	v_mov_b32_e32 v5, v8
	global_load_dwordx2 v[11:12], v[4:5], off
	v_mov_b32_e32 v5, s11
	v_add_co_u32_e32 v4, vcc, s10, v2
	v_addc_co_u32_e32 v5, vcc, v3, v5, vcc
	v_mad_u64_u32 v[13:14], s[0:1], s8, 40, v[2:3]
	global_load_dwordx2 v[15:16], v[2:3], off
	global_load_dwordx2 v[17:18], v[6:7], off
	;; [unrolled: 1-line block ×4, first 2 shown]
	v_mad_u64_u32 v[5:6], s[0:1], s8, 48, v[2:3]
	v_mov_b32_e32 v4, v14
	s_load_dwordx2 s[6:7], s[4:5], 0x0
	v_mad_u64_u32 v[7:8], s[0:1], s9, 40, v[4:5]
	v_mad_u64_u32 v[8:9], s[0:1], s8, 56, v[2:3]
	v_mov_b32_e32 v4, v6
	v_mad_u64_u32 v[23:24], s[0:1], s9, 48, v[4:5]
	v_mov_b32_e32 v4, v9
	;; [unrolled: 2-line block ×3, first 2 shown]
	v_mov_b32_e32 v6, v23
	s_lshl_b64 s[0:1], s[8:9], 6
	global_load_dwordx2 v[13:14], v[13:14], off
	v_mov_b32_e32 v4, s1
	global_load_dwordx2 v[25:26], v[5:6], off
	v_add_co_u32_e32 v23, vcc, s0, v2
	v_mov_b32_e32 v6, 0x48
	v_addc_co_u32_e32 v24, vcc, v3, v4, vcc
	v_mad_u64_u32 v[4:5], s[0:1], s8, v6, v[2:3]
	s_mul_i32 s0, s9, 0x48
	v_mov_b32_e32 v7, 0x50
	v_add_u32_e32 v5, s0, v5
	global_load_dwordx2 v[27:28], v[8:9], off
	global_load_dwordx2 v[29:30], v[23:24], off
	v_mad_u64_u32 v[23:24], s[0:1], s8, v7, v[2:3]
	global_load_dwordx2 v[8:9], v[4:5], off
	v_mov_b32_e32 v4, 0x58
	v_mad_u64_u32 v[31:32], s[0:1], s8, v4, v[2:3]
	s_mul_i32 s0, s9, 0x50
	v_add_u32_e32 v24, s0, v24
	s_mul_i32 s0, s9, 0x58
	v_mov_b32_e32 v5, 0x60
	v_add_u32_e32 v32, s0, v32
	v_mad_u64_u32 v[2:3], s[0:1], s8, v5, v[2:3]
	global_load_dwordx2 v[23:24], v[23:24], off
	s_mul_i32 s0, s9, 0x60
	global_load_dwordx2 v[31:32], v[31:32], off
	v_add_u32_e32 v3, s0, v3
	global_load_dwordx2 v[2:3], v[2:3], off
	s_waitcnt lgkmcnt(0)
	s_load_dwordx16 s[36:51], s[6:7], 0x0
	s_load_dwordx16 s[8:23], s[6:7], 0x40
	s_waitcnt vmcnt(11) lgkmcnt(0)
	v_mul_f32_e32 v33, s37, v16
	v_mul_f32_e32 v10, s37, v15
	v_fmac_f32_e32 v33, s36, v15
	v_fma_f32 v34, v16, s36, -v10
	s_waitcnt vmcnt(10)
	v_mul_f32_e32 v15, s39, v18
	v_mul_f32_e32 v10, s39, v17
	v_fmac_f32_e32 v15, s38, v17
	v_fma_f32 v16, v18, s38, -v10
	s_waitcnt vmcnt(9)
	v_mul_f32_e32 v35, s41, v20
	v_mul_f32_e32 v36, s41, v19
	ds_write2_b64 v0, v[33:34], v[15:16] offset1:1
	v_mul_f32_e32 v10, s43, v12
	v_mul_f32_e32 v15, s43, v11
	v_fmac_f32_e32 v35, s40, v19
	v_fma_f32 v36, v20, s40, -v36
	v_fmac_f32_e32 v10, s42, v11
	v_fma_f32 v11, v12, s42, -v15
	ds_write2_b64 v0, v[35:36], v[10:11] offset0:2 offset1:3
	s_waitcnt vmcnt(8)
	v_mul_f32_e32 v10, s45, v22
	v_mul_f32_e32 v11, s45, v21
	v_fmac_f32_e32 v10, s44, v21
	s_waitcnt vmcnt(7)
	v_mul_f32_e32 v12, s47, v14
	v_fmac_f32_e32 v12, s46, v13
	v_mul_f32_e32 v13, s47, v13
	v_fma_f32 v11, v22, s44, -v11
	v_fma_f32 v13, v14, s46, -v13
	ds_write2_b64 v0, v[10:11], v[12:13] offset0:4 offset1:5
	s_waitcnt vmcnt(6)
	v_mul_f32_e32 v10, s49, v26
	v_mul_f32_e32 v11, s49, v25
	v_fmac_f32_e32 v10, s48, v25
	v_fma_f32 v11, v26, s48, -v11
	s_load_dwordx4 s[0:3], s[2:3], 0x0
	s_waitcnt vmcnt(5)
	v_mul_f32_e32 v12, s51, v28
	v_mul_f32_e32 v13, s51, v27
	v_fmac_f32_e32 v12, s50, v27
	v_fma_f32 v13, v28, s50, -v13
	ds_write2_b64 v0, v[10:11], v[12:13] offset0:6 offset1:7
	s_waitcnt vmcnt(3)
	v_mul_f32_e32 v12, s11, v9
	v_mul_f32_e32 v10, s9, v30
	;; [unrolled: 1-line block ×3, first 2 shown]
	v_fmac_f32_e32 v12, s10, v8
	v_mul_f32_e32 v8, s11, v8
	v_fmac_f32_e32 v10, s8, v29
	v_fma_f32 v11, v30, s8, -v11
	v_fma_f32 v13, v9, s10, -v8
	ds_write2_b64 v0, v[10:11], v[12:13] offset0:8 offset1:9
	s_load_dwordx2 s[4:5], s[4:5], 0x38
	s_waitcnt vmcnt(2)
	v_mul_f32_e32 v8, s13, v24
	v_mul_f32_e32 v9, s13, v23
	s_waitcnt vmcnt(1)
	v_mul_f32_e32 v10, s15, v32
	v_mul_f32_e32 v11, s15, v31
	v_fmac_f32_e32 v8, s12, v23
	v_fma_f32 v9, v24, s12, -v9
	v_fmac_f32_e32 v10, s14, v31
	v_fma_f32 v11, v32, s14, -v11
	ds_write2_b64 v0, v[8:9], v[10:11] offset0:10 offset1:11
	s_waitcnt vmcnt(0)
	v_mul_f32_e32 v8, s17, v3
	v_fmac_f32_e32 v8, s16, v2
	v_mul_f32_e32 v2, s17, v2
	v_fma_f32 v9, v3, s16, -v2
	ds_write_b64 v0, v[8:9] offset:96
	s_waitcnt lgkmcnt(0)
	; wave barrier
	s_waitcnt lgkmcnt(0)
	ds_read2_b64 v[8:11], v0 offset1:1
	ds_read2_b64 v[12:15], v0 offset0:2 offset1:3
	ds_read2_b64 v[16:19], v0 offset0:4 offset1:5
	;; [unrolled: 1-line block ×5, first 2 shown]
	ds_read_b64 v[2:3], v0 offset:96
	s_waitcnt lgkmcnt(6)
	v_add_f32_e32 v32, v8, v10
	s_waitcnt lgkmcnt(5)
	v_add_f32_e32 v32, v32, v12
	v_add_f32_e32 v33, v9, v11
	v_add_f32_e32 v32, v32, v14
	v_add_f32_e32 v33, v33, v13
	s_waitcnt lgkmcnt(4)
	v_add_f32_e32 v32, v32, v16
	v_add_f32_e32 v33, v33, v15
	v_add_f32_e32 v32, v32, v18
	;; [unrolled: 5-line block ×5, first 2 shown]
	v_add_f32_e32 v33, v33, v29
	s_waitcnt lgkmcnt(0)
	v_add_f32_e32 v32, v32, v2
	v_add_f32_e32 v34, v2, v10
	v_sub_f32_e32 v2, v10, v2
	v_add_f32_e32 v33, v33, v31
	v_mul_f32_e32 v36, 0xbeedf032, v2
	v_mul_f32_e32 v40, 0xbf52af12, v2
	;; [unrolled: 1-line block ×6, first 2 shown]
	v_add_f32_e32 v33, v33, v3
	v_add_f32_e32 v35, v3, v11
	v_sub_f32_e32 v3, v11, v3
	v_mov_b32_e32 v55, v2
	v_mul_f32_e32 v10, 0xbeedf032, v3
	v_fma_f32 v37, v35, s26, -v36
	v_fmac_f32_e32 v36, 0x3f62ad3f, v35
	v_mul_f32_e32 v38, 0xbf52af12, v3
	v_fma_f32 v41, v35, s25, -v40
	v_fmac_f32_e32 v40, 0x3f116cb1, v35
	;; [unrolled: 3-line block ×5, first 2 shown]
	v_mul_f32_e32 v3, 0xbe750f2a, v3
	v_fmac_f32_e32 v55, 0xbf788fa5, v35
	v_fma_f32 v2, v35, s29, -v2
	v_fma_f32 v11, v34, s26, -v10
	v_add_f32_e32 v36, v9, v36
	v_fmac_f32_e32 v10, 0x3f62ad3f, v34
	v_add_f32_e32 v37, v9, v37
	v_fma_f32 v39, v34, s25, -v38
	v_add_f32_e32 v40, v9, v40
	v_fmac_f32_e32 v38, 0x3f116cb1, v34
	v_add_f32_e32 v41, v9, v41
	;; [unrolled: 4-line block ×6, first 2 shown]
	v_add_f32_e32 v9, v31, v13
	v_sub_f32_e32 v13, v13, v31
	v_add_f32_e32 v11, v8, v11
	v_add_f32_e32 v10, v8, v10
	;; [unrolled: 1-line block ×13, first 2 shown]
	v_sub_f32_e32 v12, v12, v30
	v_mul_f32_e32 v30, 0xbf52af12, v13
	v_fma_f32 v31, v8, s25, -v30
	v_add_f32_e32 v11, v31, v11
	v_mul_f32_e32 v31, 0xbf52af12, v12
	v_fma_f32 v34, v9, s25, -v31
	v_fmac_f32_e32 v30, 0x3f116cb1, v8
	v_add_f32_e32 v10, v30, v10
	v_add_f32_e32 v30, v34, v37
	v_mul_f32_e32 v34, 0xbf6f5d39, v13
	v_fmac_f32_e32 v31, 0x3f116cb1, v9
	v_fma_f32 v35, v8, s27, -v34
	v_fmac_f32_e32 v34, 0xbeb58ec6, v8
	v_add_f32_e32 v31, v31, v36
	v_mul_f32_e32 v36, 0xbf6f5d39, v12
	v_add_f32_e32 v34, v34, v38
	v_mul_f32_e32 v38, 0xbe750f2a, v13
	v_add_f32_e32 v35, v35, v39
	v_fma_f32 v37, v9, s27, -v36
	v_fmac_f32_e32 v36, 0xbeb58ec6, v9
	v_fma_f32 v39, v8, s29, -v38
	v_fmac_f32_e32 v38, 0xbf788fa5, v8
	v_add_f32_e32 v36, v36, v40
	v_mul_f32_e32 v40, 0xbe750f2a, v12
	v_add_f32_e32 v38, v38, v42
	v_mul_f32_e32 v42, 0x3f29c268, v13
	v_add_f32_e32 v37, v37, v41
	v_add_f32_e32 v39, v39, v43
	v_fma_f32 v41, v9, s29, -v40
	v_fmac_f32_e32 v40, 0xbf788fa5, v9
	v_fma_f32 v43, v8, s28, -v42
	v_fmac_f32_e32 v42, 0xbf3f9e67, v8
	v_add_f32_e32 v40, v40, v44
	v_mul_f32_e32 v44, 0x3f29c268, v12
	v_add_f32_e32 v42, v42, v46
	v_mul_f32_e32 v46, 0x3f7e222b, v13
	v_add_f32_e32 v41, v41, v45
	v_add_f32_e32 v43, v43, v47
	v_fma_f32 v45, v9, s28, -v44
	v_fmac_f32_e32 v44, 0xbf3f9e67, v9
	v_fma_f32 v47, v8, s24, -v46
	v_fmac_f32_e32 v46, 0x3df6dbef, v8
	v_mul_f32_e32 v13, 0x3eedf032, v13
	v_add_f32_e32 v44, v44, v48
	v_mul_f32_e32 v48, 0x3f7e222b, v12
	v_add_f32_e32 v46, v46, v50
	v_fma_f32 v50, v8, s26, -v13
	v_mul_f32_e32 v12, 0x3eedf032, v12
	v_fmac_f32_e32 v13, 0x3f62ad3f, v8
	v_add_f32_e32 v3, v13, v3
	v_fma_f32 v8, v9, s26, -v12
	v_sub_f32_e32 v13, v15, v29
	v_add_f32_e32 v47, v47, v51
	v_mov_b32_e32 v51, v12
	v_add_f32_e32 v2, v8, v2
	v_add_f32_e32 v8, v28, v14
	v_sub_f32_e32 v12, v14, v28
	v_mul_f32_e32 v14, 0xbf7e222b, v13
	v_add_f32_e32 v45, v45, v49
	v_fma_f32 v49, v9, s24, -v48
	v_fmac_f32_e32 v48, 0x3df6dbef, v9
	v_fmac_f32_e32 v51, 0x3f62ad3f, v9
	v_add_f32_e32 v9, v29, v15
	v_fma_f32 v15, v8, s24, -v14
	v_add_f32_e32 v11, v15, v11
	v_mul_f32_e32 v15, 0xbf7e222b, v12
	v_fma_f32 v28, v9, s24, -v15
	v_fmac_f32_e32 v14, 0x3df6dbef, v8
	v_add_f32_e32 v10, v14, v10
	v_add_f32_e32 v14, v28, v30
	v_mul_f32_e32 v28, 0xbe750f2a, v13
	v_fma_f32 v29, v8, s29, -v28
	v_fmac_f32_e32 v28, 0xbf788fa5, v8
	v_fmac_f32_e32 v15, 0x3df6dbef, v9
	v_mul_f32_e32 v30, 0xbe750f2a, v12
	v_add_f32_e32 v28, v28, v34
	v_mul_f32_e32 v34, 0x3f6f5d39, v13
	v_add_f32_e32 v15, v15, v31
	v_add_f32_e32 v29, v29, v35
	v_fma_f32 v31, v9, s29, -v30
	v_fmac_f32_e32 v30, 0xbf788fa5, v9
	v_fma_f32 v35, v8, s27, -v34
	v_fmac_f32_e32 v34, 0xbeb58ec6, v8
	v_add_f32_e32 v30, v30, v36
	v_mul_f32_e32 v36, 0x3f6f5d39, v12
	v_add_f32_e32 v34, v34, v38
	v_mul_f32_e32 v38, 0x3eedf032, v13
	v_add_f32_e32 v31, v31, v37
	v_add_f32_e32 v35, v35, v39
	v_fma_f32 v37, v9, s27, -v36
	v_fmac_f32_e32 v36, 0xbeb58ec6, v9
	v_fma_f32 v39, v8, s26, -v38
	v_fmac_f32_e32 v38, 0x3f62ad3f, v8
	v_add_f32_e32 v36, v36, v40
	v_mul_f32_e32 v40, 0x3eedf032, v12
	v_add_f32_e32 v38, v38, v42
	v_mul_f32_e32 v42, 0xbf52af12, v13
	v_add_f32_e32 v37, v37, v41
	v_add_f32_e32 v39, v39, v43
	v_fma_f32 v41, v9, s26, -v40
	v_fmac_f32_e32 v40, 0x3f62ad3f, v9
	v_fma_f32 v43, v8, s25, -v42
	v_fmac_f32_e32 v42, 0x3f116cb1, v8
	v_mul_f32_e32 v13, 0xbf29c268, v13
	v_add_f32_e32 v40, v40, v44
	v_mul_f32_e32 v44, 0xbf52af12, v12
	v_add_f32_e32 v42, v42, v46
	v_fma_f32 v46, v8, s28, -v13
	v_mul_f32_e32 v12, 0xbf29c268, v12
	v_fmac_f32_e32 v13, 0xbf3f9e67, v8
	v_add_f32_e32 v3, v13, v3
	v_fma_f32 v8, v9, s28, -v12
	v_sub_f32_e32 v13, v17, v27
	v_add_f32_e32 v43, v43, v47
	v_mov_b32_e32 v47, v12
	v_add_f32_e32 v2, v8, v2
	v_add_f32_e32 v8, v26, v16
	v_sub_f32_e32 v12, v16, v26
	v_mul_f32_e32 v16, 0xbf6f5d39, v13
	v_add_f32_e32 v41, v41, v45
	v_fma_f32 v45, v9, s25, -v44
	v_fmac_f32_e32 v44, 0x3f116cb1, v9
	v_fmac_f32_e32 v47, 0xbf3f9e67, v9
	v_add_f32_e32 v9, v27, v17
	v_fma_f32 v17, v8, s27, -v16
	v_add_f32_e32 v11, v17, v11
	v_mul_f32_e32 v17, 0xbf6f5d39, v12
	v_fmac_f32_e32 v16, 0xbeb58ec6, v8
	v_fma_f32 v26, v9, s27, -v17
	v_fmac_f32_e32 v17, 0xbeb58ec6, v9
	v_add_f32_e32 v10, v16, v10
	v_mul_f32_e32 v16, 0x3f29c268, v13
	v_add_f32_e32 v15, v17, v15
	v_fma_f32 v17, v8, s28, -v16
	v_fmac_f32_e32 v16, 0xbf3f9e67, v8
	v_add_f32_e32 v14, v26, v14
	v_mul_f32_e32 v26, 0x3f29c268, v12
	v_add_f32_e32 v16, v16, v28
	v_mul_f32_e32 v28, 0x3eedf032, v13
	v_add_f32_e32 v17, v17, v29
	v_fma_f32 v27, v9, s28, -v26
	v_fmac_f32_e32 v26, 0xbf3f9e67, v9
	v_fma_f32 v29, v8, s26, -v28
	v_fmac_f32_e32 v28, 0x3f62ad3f, v8
	v_add_f32_e32 v26, v26, v30
	v_mul_f32_e32 v30, 0x3eedf032, v12
	v_add_f32_e32 v28, v28, v34
	v_mul_f32_e32 v34, 0xbf7e222b, v13
	v_add_f32_e32 v27, v27, v31
	v_add_f32_e32 v29, v29, v35
	v_fma_f32 v31, v9, s26, -v30
	v_fmac_f32_e32 v30, 0x3f62ad3f, v9
	v_fma_f32 v35, v8, s24, -v34
	v_fmac_f32_e32 v34, 0x3df6dbef, v8
	v_add_f32_e32 v30, v30, v36
	v_mul_f32_e32 v36, 0xbf7e222b, v12
	v_add_f32_e32 v34, v34, v38
	v_mul_f32_e32 v38, 0x3e750f2a, v13
	v_add_f32_e32 v31, v31, v37
	v_add_f32_e32 v35, v35, v39
	v_fma_f32 v37, v9, s24, -v36
	v_fmac_f32_e32 v36, 0x3df6dbef, v9
	v_fma_f32 v39, v8, s29, -v38
	v_fmac_f32_e32 v38, 0xbf788fa5, v8
	v_mul_f32_e32 v13, 0x3f52af12, v13
	v_add_f32_e32 v36, v36, v40
	v_mul_f32_e32 v40, 0x3e750f2a, v12
	v_add_f32_e32 v38, v38, v42
	v_fma_f32 v42, v8, s25, -v13
	v_mul_f32_e32 v12, 0x3f52af12, v12
	v_fmac_f32_e32 v13, 0x3f116cb1, v8
	v_add_f32_e32 v3, v13, v3
	v_fma_f32 v8, v9, s25, -v12
	v_sub_f32_e32 v13, v19, v25
	v_add_f32_e32 v39, v39, v43
	v_mov_b32_e32 v43, v12
	v_add_f32_e32 v2, v8, v2
	v_add_f32_e32 v8, v24, v18
	v_sub_f32_e32 v12, v18, v24
	v_mul_f32_e32 v18, 0xbf29c268, v13
	v_add_f32_e32 v37, v37, v41
	v_fma_f32 v41, v9, s29, -v40
	v_fmac_f32_e32 v40, 0xbf788fa5, v9
	v_fmac_f32_e32 v43, 0x3f116cb1, v9
	v_add_f32_e32 v9, v25, v19
	v_fma_f32 v19, v8, s28, -v18
	v_add_f32_e32 v11, v19, v11
	v_mul_f32_e32 v19, 0xbf29c268, v12
	v_fmac_f32_e32 v18, 0xbf3f9e67, v8
	v_fma_f32 v24, v9, s28, -v19
	v_fmac_f32_e32 v19, 0xbf3f9e67, v9
	v_add_f32_e32 v10, v18, v10
	v_mul_f32_e32 v18, 0x3f7e222b, v13
	v_add_f32_e32 v15, v19, v15
	v_fma_f32 v19, v8, s24, -v18
	v_add_f32_e32 v17, v19, v17
	v_mul_f32_e32 v19, 0x3f7e222b, v12
	v_add_f32_e32 v14, v24, v14
	v_fma_f32 v24, v9, s24, -v19
	v_fmac_f32_e32 v18, 0x3df6dbef, v8
	v_fmac_f32_e32 v19, 0x3df6dbef, v9
	v_add_f32_e32 v16, v18, v16
	v_add_f32_e32 v18, v24, v27
	v_mul_f32_e32 v24, 0xbf52af12, v13
	v_add_f32_e32 v19, v19, v26
	v_fma_f32 v25, v8, s25, -v24
	v_mul_f32_e32 v26, 0xbf52af12, v12
	v_fmac_f32_e32 v24, 0x3f116cb1, v8
	v_fma_f32 v27, v9, s25, -v26
	v_fmac_f32_e32 v26, 0x3f116cb1, v9
	v_add_f32_e32 v24, v24, v28
	v_mul_f32_e32 v28, 0x3e750f2a, v13
	v_add_f32_e32 v25, v25, v29
	v_add_f32_e32 v26, v26, v30
	v_fma_f32 v29, v8, s29, -v28
	v_mul_f32_e32 v30, 0x3e750f2a, v12
	v_fmac_f32_e32 v28, 0xbf788fa5, v8
	v_add_f32_e32 v48, v48, v52
	v_add_f32_e32 v49, v49, v53
	;; [unrolled: 1-line block ×4, first 2 shown]
	v_fma_f32 v31, v9, s29, -v30
	v_fmac_f32_e32 v30, 0xbf788fa5, v9
	v_add_f32_e32 v28, v28, v34
	v_mul_f32_e32 v34, 0x3eedf032, v13
	v_add_f32_e32 v44, v44, v48
	v_add_f32_e32 v45, v45, v49
	v_add_f32_e32 v46, v46, v50
	v_add_f32_e32 v29, v29, v35
	v_add_f32_e32 v30, v30, v36
	v_fma_f32 v35, v8, s26, -v34
	v_mul_f32_e32 v36, 0x3eedf032, v12
	v_fmac_f32_e32 v34, 0x3f62ad3f, v8
	v_mul_f32_e32 v13, 0xbf6f5d39, v13
	v_add_f32_e32 v51, v51, v55
	v_add_f32_e32 v40, v40, v44
	;; [unrolled: 1-line block ×5, first 2 shown]
	v_fma_f32 v37, v9, s26, -v36
	v_fmac_f32_e32 v36, 0x3f62ad3f, v9
	v_add_f32_e32 v34, v34, v38
	v_fma_f32 v38, v8, s27, -v13
	v_mul_f32_e32 v12, 0xbf6f5d39, v12
	v_fmac_f32_e32 v13, 0xbeb58ec6, v8
	v_sub_f32_e32 v45, v21, v23
	v_add_f32_e32 v47, v47, v51
	v_add_f32_e32 v35, v35, v39
	;; [unrolled: 1-line block ×4, first 2 shown]
	v_mov_b32_e32 v39, v12
	v_add_f32_e32 v40, v13, v3
	v_fma_f32 v3, v9, s27, -v12
	v_add_f32_e32 v42, v22, v20
	v_mul_f32_e32 v8, 0xbe750f2a, v45
	v_add_f32_e32 v43, v43, v47
	v_add_f32_e32 v37, v37, v41
	v_fmac_f32_e32 v39, 0xbeb58ec6, v9
	v_add_f32_e32 v41, v3, v2
	v_sub_f32_e32 v44, v20, v22
	v_fma_f32 v2, v42, s29, -v8
	v_add_f32_e32 v39, v39, v43
	v_add_f32_e32 v43, v23, v21
	;; [unrolled: 1-line block ×3, first 2 shown]
	v_mul_f32_e32 v3, 0xbe750f2a, v44
	v_fmac_f32_e32 v8, 0xbf788fa5, v42
	v_mul_f32_e32 v12, 0x3eedf032, v45
	v_mul_f32_e32 v11, 0x3eedf032, v44
	v_fma_f32 v9, v43, s29, -v3
	v_fmac_f32_e32 v3, 0xbf788fa5, v43
	v_add_f32_e32 v8, v8, v10
	v_fma_f32 v10, v42, s26, -v12
	v_fma_f32 v13, v43, s26, -v11
	v_fmac_f32_e32 v12, 0x3f62ad3f, v42
	v_mul_f32_e32 v20, 0x3f52af12, v45
	v_add_f32_e32 v3, v3, v15
	v_add_f32_e32 v12, v12, v16
	;; [unrolled: 1-line block ×3, first 2 shown]
	v_mul_f32_e32 v16, 0xbf29c268, v45
	v_mul_f32_e32 v15, 0xbf29c268, v44
	v_fma_f32 v18, v42, s25, -v20
	v_add_f32_e32 v9, v9, v14
	v_add_f32_e32 v10, v10, v17
	v_fmac_f32_e32 v11, 0x3f62ad3f, v43
	v_fma_f32 v14, v42, s28, -v16
	v_fma_f32 v17, v43, s28, -v15
	v_fmac_f32_e32 v16, 0xbf3f9e67, v42
	v_add_f32_e32 v18, v18, v29
	v_fmac_f32_e32 v20, 0x3f116cb1, v42
	v_mul_f32_e32 v29, 0x3f7e222b, v44
	v_add_f32_e32 v11, v11, v19
	v_fmac_f32_e32 v15, 0xbf3f9e67, v43
	v_add_f32_e32 v16, v16, v24
	v_add_f32_e32 v17, v17, v27
	v_mul_f32_e32 v19, 0x3f52af12, v44
	v_add_f32_e32 v20, v20, v28
	v_mul_f32_e32 v24, 0xbf6f5d39, v45
	v_mul_f32_e32 v23, 0xbf6f5d39, v44
	;; [unrolled: 1-line block ×3, first 2 shown]
	v_mov_b32_e32 v27, v29
	v_add_f32_e32 v14, v14, v25
	v_add_f32_e32 v15, v15, v26
	v_fma_f32 v21, v43, s25, -v19
	v_fmac_f32_e32 v19, 0x3f116cb1, v43
	v_fma_f32 v22, v42, s27, -v24
	v_fma_f32 v25, v43, s27, -v23
	v_fmac_f32_e32 v23, 0xbeb58ec6, v43
	v_fmac_f32_e32 v24, 0xbeb58ec6, v42
	v_fma_f32 v26, v42, s24, -v28
	v_fmac_f32_e32 v27, 0x3df6dbef, v43
	v_fmac_f32_e32 v28, 0x3df6dbef, v42
	v_fma_f32 v29, v43, s24, -v29
	v_add_f32_e32 v19, v19, v30
	v_add_f32_e32 v21, v21, v31
	;; [unrolled: 1-line block ×10, first 2 shown]
	ds_write2_b64 v0, v[32:33], v[2:3] offset1:1
	ds_write2_b64 v0, v[10:11], v[14:15] offset0:2 offset1:3
	ds_write2_b64 v0, v[18:19], v[22:23] offset0:4 offset1:5
	;; [unrolled: 1-line block ×5, first 2 shown]
	ds_write_b64 v0, v[8:9] offset:96
	s_waitcnt lgkmcnt(0)
	; wave barrier
	s_waitcnt lgkmcnt(0)
	ds_read2_b64 v[8:11], v0 offset1:1
	ds_read2_b64 v[12:15], v0 offset0:2 offset1:3
	s_load_dwordx16 s[52:67], s[6:7], 0x80
	v_mad_u64_u32 v[2:3], s[30:31], s2, v1, 0
	s_waitcnt lgkmcnt(0)
	v_mul_f32_e32 v16, s19, v9
	v_mul_f32_e32 v17, s19, v8
	v_fma_f32 v16, v8, s18, -v16
	v_fmac_f32_e32 v17, s18, v9
	v_mul_f32_e32 v8, s21, v11
	v_mul_f32_e32 v9, s21, v10
	v_fma_f32 v8, v10, s20, -v8
	v_fmac_f32_e32 v9, s20, v11
	ds_write2_b64 v0, v[16:17], v[8:9] offset1:1
	v_mul_f32_e32 v8, s23, v13
	v_fma_f32 v16, v12, s22, -v8
	v_mul_f32_e32 v8, s53, v15
	v_mul_f32_e32 v17, s23, v12
	v_fma_f32 v12, v14, s52, -v8
	ds_read2_b64 v[8:11], v0 offset0:4 offset1:5
	v_fmac_f32_e32 v17, s22, v13
	v_mul_f32_e32 v13, s53, v14
	v_fmac_f32_e32 v13, s52, v15
	ds_write2_b64 v0, v[16:17], v[12:13] offset0:2 offset1:3
	ds_read2_b64 v[12:15], v0 offset0:6 offset1:7
	s_waitcnt lgkmcnt(2)
	v_mul_f32_e32 v16, s55, v9
	v_mul_f32_e32 v17, s55, v8
	v_fma_f32 v16, v8, s54, -v16
	v_fmac_f32_e32 v17, s54, v9
	v_mul_f32_e32 v8, s57, v11
	v_mul_f32_e32 v9, s57, v10
	v_fma_f32 v8, v10, s56, -v8
	v_fmac_f32_e32 v9, s56, v11
	ds_write2_b64 v0, v[16:17], v[8:9] offset0:4 offset1:5
	s_waitcnt lgkmcnt(1)
	v_mul_f32_e32 v8, s59, v13
	v_fma_f32 v16, v12, s58, -v8
	v_mul_f32_e32 v8, s61, v15
	v_mul_f32_e32 v17, s59, v12
	v_fma_f32 v12, v14, s60, -v8
	ds_read2_b64 v[8:11], v0 offset0:8 offset1:9
	v_fmac_f32_e32 v17, s58, v13
	v_mul_f32_e32 v13, s61, v14
	v_fmac_f32_e32 v13, s60, v15
	ds_write2_b64 v0, v[16:17], v[12:13] offset0:6 offset1:7
	ds_read2_b64 v[12:15], v0 offset0:10 offset1:11
	s_waitcnt lgkmcnt(2)
	v_mul_f32_e32 v16, s63, v9
	v_mul_f32_e32 v17, s63, v8
	s_load_dwordx4 s[20:23], s[6:7], 0xc0
	v_fma_f32 v16, v8, s62, -v16
	v_fmac_f32_e32 v17, s62, v9
	v_mul_f32_e32 v8, s65, v11
	v_mul_f32_e32 v9, s65, v10
	v_fma_f32 v8, v10, s64, -v8
	v_fmac_f32_e32 v9, s64, v11
	ds_read_b64 v[10:11], v0 offset:96
	ds_write2_b64 v0, v[16:17], v[8:9] offset0:8 offset1:9
	s_waitcnt lgkmcnt(0)
	v_mul_f32_e32 v8, s67, v13
	v_mul_f32_e32 v9, s67, v12
	v_fma_f32 v8, v12, s66, -v8
	v_fmac_f32_e32 v9, s66, v13
	v_mul_f32_e32 v12, s21, v15
	v_mul_f32_e32 v13, s21, v14
	v_fma_f32 v12, v14, s20, -v12
	v_fmac_f32_e32 v13, s20, v15
	ds_write2_b64 v0, v[8:9], v[12:13] offset0:10 offset1:11
	v_mul_f32_e32 v8, s23, v11
	v_mul_f32_e32 v9, s23, v10
	v_fma_f32 v8, v10, s22, -v8
	v_fmac_f32_e32 v9, s22, v11
	ds_write_b64 v0, v[8:9] offset:96
	s_waitcnt lgkmcnt(0)
	; wave barrier
	s_waitcnt lgkmcnt(0)
	ds_read2_b64 v[8:11], v0 offset1:1
	ds_read2_b64 v[12:15], v0 offset0:2 offset1:3
	ds_read2_b64 v[16:19], v0 offset0:4 offset1:5
	;; [unrolled: 1-line block ×5, first 2 shown]
	ds_read_b64 v[32:33], v0 offset:96
	s_waitcnt lgkmcnt(6)
	v_add_f32_e32 v34, v8, v10
	s_waitcnt lgkmcnt(5)
	v_add_f32_e32 v34, v34, v12
	v_add_f32_e32 v35, v9, v11
	v_add_f32_e32 v34, v34, v14
	v_add_f32_e32 v35, v35, v13
	s_waitcnt lgkmcnt(4)
	v_add_f32_e32 v34, v34, v16
	v_add_f32_e32 v35, v35, v15
	v_add_f32_e32 v34, v34, v18
	;; [unrolled: 5-line block ×5, first 2 shown]
	s_waitcnt lgkmcnt(0)
	v_add_f32_e32 v37, v33, v11
	v_sub_f32_e32 v11, v11, v33
	v_add_f32_e32 v35, v35, v29
	v_add_f32_e32 v34, v34, v32
	;; [unrolled: 1-line block ×3, first 2 shown]
	v_sub_f32_e32 v10, v10, v32
	v_mul_f32_e32 v32, 0xbeedf032, v11
	v_mul_f32_e32 v40, 0xbf52af12, v11
	v_mul_f32_e32 v44, 0xbf7e222b, v11
	v_mul_f32_e32 v48, 0xbf6f5d39, v11
	v_mul_f32_e32 v52, 0xbf29c268, v11
	v_mul_f32_e32 v11, 0xbe750f2a, v11
	v_add_f32_e32 v35, v35, v31
	v_mov_b32_e32 v56, v11
	v_add_f32_e32 v35, v35, v33
	v_fma_f32 v33, v36, s26, -v32
	v_fmac_f32_e32 v32, 0x3f62ad3f, v36
	v_mul_f32_e32 v38, 0x3f62ad3f, v37
	v_fma_f32 v41, v36, s25, -v40
	v_fmac_f32_e32 v40, 0x3f116cb1, v36
	v_mul_f32_e32 v42, 0x3f116cb1, v37
	;; [unrolled: 3-line block ×5, first 2 shown]
	v_fmac_f32_e32 v56, 0xbf788fa5, v36
	v_mul_f32_e32 v37, 0xbf788fa5, v37
	v_fma_f32 v11, v36, s29, -v11
	v_add_f32_e32 v32, v8, v32
	v_mov_b32_e32 v39, v38
	v_add_f32_e32 v33, v8, v33
	v_add_f32_e32 v40, v8, v40
	v_mov_b32_e32 v43, v42
	v_add_f32_e32 v41, v8, v41
	v_add_f32_e32 v44, v8, v44
	v_mov_b32_e32 v47, v46
	v_add_f32_e32 v45, v8, v45
	v_add_f32_e32 v48, v8, v48
	v_mov_b32_e32 v51, v50
	v_add_f32_e32 v49, v8, v49
	v_add_f32_e32 v52, v8, v52
	v_mov_b32_e32 v55, v54
	v_add_f32_e32 v53, v8, v53
	v_add_f32_e32 v56, v8, v56
	v_mov_b32_e32 v57, v37
	v_add_f32_e32 v8, v8, v11
	v_add_f32_e32 v11, v31, v13
	v_sub_f32_e32 v13, v13, v31
	v_fmac_f32_e32 v39, 0x3eedf032, v10
	v_fmac_f32_e32 v38, 0xbeedf032, v10
	;; [unrolled: 1-line block ×12, first 2 shown]
	v_add_f32_e32 v10, v30, v12
	v_sub_f32_e32 v12, v12, v30
	v_mul_f32_e32 v30, 0xbf52af12, v13
	v_fma_f32 v31, v10, s25, -v30
	v_fmac_f32_e32 v30, 0x3f116cb1, v10
	v_add_f32_e32 v30, v30, v32
	v_mul_f32_e32 v32, 0x3f116cb1, v11
	v_add_f32_e32 v38, v9, v38
	v_mov_b32_e32 v36, v32
	v_add_f32_e32 v31, v31, v33
	v_fmac_f32_e32 v32, 0xbf52af12, v12
	v_mul_f32_e32 v33, 0xbf6f5d39, v13
	v_add_f32_e32 v39, v9, v39
	v_add_f32_e32 v43, v9, v43
	;; [unrolled: 1-line block ×11, first 2 shown]
	v_fmac_f32_e32 v36, 0x3f52af12, v12
	v_add_f32_e32 v32, v32, v38
	v_fma_f32 v37, v10, s27, -v33
	v_fmac_f32_e32 v33, 0xbeb58ec6, v10
	v_mul_f32_e32 v38, 0xbeb58ec6, v11
	v_add_f32_e32 v36, v36, v39
	v_add_f32_e32 v33, v33, v40
	v_mov_b32_e32 v39, v38
	v_fmac_f32_e32 v38, 0xbf6f5d39, v12
	v_mul_f32_e32 v40, 0xbe750f2a, v13
	v_fmac_f32_e32 v39, 0x3f6f5d39, v12
	v_add_f32_e32 v37, v37, v41
	v_add_f32_e32 v38, v38, v42
	v_fma_f32 v41, v10, s29, -v40
	v_fmac_f32_e32 v40, 0xbf788fa5, v10
	v_mul_f32_e32 v42, 0xbf788fa5, v11
	v_add_f32_e32 v39, v39, v43
	v_add_f32_e32 v40, v40, v44
	v_mov_b32_e32 v43, v42
	v_fmac_f32_e32 v42, 0xbe750f2a, v12
	v_mul_f32_e32 v44, 0x3f29c268, v13
	v_fmac_f32_e32 v43, 0x3e750f2a, v12
	v_add_f32_e32 v41, v41, v45
	v_add_f32_e32 v42, v42, v46
	v_fma_f32 v45, v10, s28, -v44
	v_fmac_f32_e32 v44, 0xbf3f9e67, v10
	v_mul_f32_e32 v46, 0xbf3f9e67, v11
	v_add_f32_e32 v43, v43, v47
	v_add_f32_e32 v44, v44, v48
	v_mov_b32_e32 v47, v46
	v_fmac_f32_e32 v46, 0x3f29c268, v12
	v_mul_f32_e32 v48, 0x3f7e222b, v13
	v_add_f32_e32 v45, v45, v49
	v_add_f32_e32 v46, v46, v50
	v_fma_f32 v49, v10, s24, -v48
	v_fmac_f32_e32 v48, 0x3df6dbef, v10
	v_mul_f32_e32 v50, 0x3df6dbef, v11
	v_mul_f32_e32 v13, 0x3eedf032, v13
	;; [unrolled: 1-line block ×3, first 2 shown]
	v_fmac_f32_e32 v47, 0xbf29c268, v12
	v_add_f32_e32 v48, v48, v52
	v_add_f32_e32 v49, v49, v53
	v_mov_b32_e32 v52, v13
	v_mov_b32_e32 v53, v11
	v_fmac_f32_e32 v11, 0x3eedf032, v12
	v_add_f32_e32 v47, v47, v51
	v_mov_b32_e32 v51, v50
	v_fmac_f32_e32 v52, 0x3f62ad3f, v10
	v_fma_f32 v10, v10, s26, -v13
	v_add_f32_e32 v9, v11, v9
	v_add_f32_e32 v11, v29, v15
	v_sub_f32_e32 v13, v15, v29
	v_fmac_f32_e32 v51, 0xbf7e222b, v12
	v_fmac_f32_e32 v50, 0x3f7e222b, v12
	;; [unrolled: 1-line block ×3, first 2 shown]
	v_add_f32_e32 v8, v10, v8
	v_add_f32_e32 v10, v28, v14
	v_sub_f32_e32 v12, v14, v28
	v_mul_f32_e32 v14, 0xbf7e222b, v13
	v_mul_f32_e32 v28, 0x3df6dbef, v11
	v_fma_f32 v15, v10, s24, -v14
	v_fmac_f32_e32 v14, 0x3df6dbef, v10
	v_mov_b32_e32 v29, v28
	v_add_f32_e32 v14, v14, v30
	v_fmac_f32_e32 v29, 0x3f7e222b, v12
	v_fmac_f32_e32 v28, 0xbf7e222b, v12
	v_mul_f32_e32 v30, 0xbe750f2a, v13
	v_add_f32_e32 v29, v29, v36
	v_add_f32_e32 v15, v15, v31
	;; [unrolled: 1-line block ×3, first 2 shown]
	v_fma_f32 v31, v10, s29, -v30
	v_fmac_f32_e32 v30, 0xbf788fa5, v10
	v_mul_f32_e32 v32, 0xbf788fa5, v11
	v_mul_f32_e32 v36, 0x3f6f5d39, v13
	v_add_f32_e32 v30, v30, v33
	v_mov_b32_e32 v33, v32
	v_add_f32_e32 v31, v31, v37
	v_fmac_f32_e32 v32, 0xbe750f2a, v12
	v_fma_f32 v37, v10, s27, -v36
	v_fmac_f32_e32 v36, 0xbeb58ec6, v10
	v_fmac_f32_e32 v33, 0x3e750f2a, v12
	v_add_f32_e32 v32, v32, v38
	v_add_f32_e32 v36, v36, v40
	v_mul_f32_e32 v38, 0xbeb58ec6, v11
	v_mul_f32_e32 v40, 0x3eedf032, v13
	v_add_f32_e32 v33, v33, v39
	v_mov_b32_e32 v39, v38
	v_add_f32_e32 v37, v37, v41
	v_fmac_f32_e32 v38, 0x3f6f5d39, v12
	v_fma_f32 v41, v10, s26, -v40
	v_fmac_f32_e32 v40, 0x3f62ad3f, v10
	v_fmac_f32_e32 v39, 0xbf6f5d39, v12
	v_add_f32_e32 v38, v38, v42
	v_add_f32_e32 v40, v40, v44
	v_mul_f32_e32 v42, 0x3f62ad3f, v11
	v_mul_f32_e32 v44, 0xbf52af12, v13
	v_add_f32_e32 v39, v39, v43
	v_mov_b32_e32 v43, v42
	v_add_f32_e32 v41, v41, v45
	v_fmac_f32_e32 v42, 0x3eedf032, v12
	v_fma_f32 v45, v10, s25, -v44
	v_fmac_f32_e32 v44, 0x3f116cb1, v10
	v_mul_f32_e32 v13, 0xbf29c268, v13
	v_fmac_f32_e32 v43, 0xbeedf032, v12
	v_add_f32_e32 v42, v42, v46
	v_add_f32_e32 v44, v44, v48
	v_mul_f32_e32 v46, 0x3f116cb1, v11
	v_mov_b32_e32 v48, v13
	v_mul_f32_e32 v11, 0xbf3f9e67, v11
	v_add_f32_e32 v43, v43, v47
	v_mov_b32_e32 v47, v46
	v_add_f32_e32 v45, v45, v49
	v_fmac_f32_e32 v48, 0xbf3f9e67, v10
	v_mov_b32_e32 v49, v11
	v_fma_f32 v10, v10, s28, -v13
	v_sub_f32_e32 v13, v17, v27
	v_fmac_f32_e32 v47, 0x3f52af12, v12
	v_fmac_f32_e32 v46, 0xbf52af12, v12
	;; [unrolled: 1-line block ×3, first 2 shown]
	v_add_f32_e32 v8, v10, v8
	v_fmac_f32_e32 v11, 0xbf29c268, v12
	v_add_f32_e32 v10, v26, v16
	v_sub_f32_e32 v12, v16, v26
	v_mul_f32_e32 v16, 0xbf6f5d39, v13
	v_add_f32_e32 v9, v11, v9
	v_add_f32_e32 v11, v27, v17
	v_fma_f32 v17, v10, s27, -v16
	v_fmac_f32_e32 v16, 0xbeb58ec6, v10
	v_add_f32_e32 v14, v16, v14
	v_mul_f32_e32 v16, 0xbeb58ec6, v11
	v_add_f32_e32 v15, v17, v15
	v_mul_f32_e32 v17, 0x3f29c268, v13
	v_mov_b32_e32 v26, v16
	v_fmac_f32_e32 v16, 0xbf6f5d39, v12
	v_fma_f32 v27, v10, s28, -v17
	v_fmac_f32_e32 v17, 0xbf3f9e67, v10
	v_fmac_f32_e32 v26, 0x3f6f5d39, v12
	v_add_f32_e32 v16, v16, v28
	v_add_f32_e32 v17, v17, v30
	v_mul_f32_e32 v28, 0xbf3f9e67, v11
	v_mul_f32_e32 v30, 0x3eedf032, v13
	v_add_f32_e32 v26, v26, v29
	v_mov_b32_e32 v29, v28
	v_add_f32_e32 v27, v27, v31
	v_fmac_f32_e32 v28, 0x3f29c268, v12
	v_fma_f32 v31, v10, s26, -v30
	v_fmac_f32_e32 v30, 0x3f62ad3f, v10
	v_fmac_f32_e32 v29, 0xbf29c268, v12
	v_add_f32_e32 v28, v28, v32
	v_add_f32_e32 v30, v30, v36
	v_mul_f32_e32 v32, 0x3f62ad3f, v11
	v_mul_f32_e32 v36, 0xbf7e222b, v13
	v_add_f32_e32 v29, v29, v33
	v_mov_b32_e32 v33, v32
	v_add_f32_e32 v31, v31, v37
	;; [unrolled: 11-line block ×3, first 2 shown]
	v_fmac_f32_e32 v38, 0xbf7e222b, v12
	v_fma_f32 v41, v10, s29, -v40
	v_fmac_f32_e32 v40, 0xbf788fa5, v10
	v_mul_f32_e32 v13, 0x3f52af12, v13
	v_fmac_f32_e32 v39, 0x3f7e222b, v12
	v_add_f32_e32 v38, v38, v42
	v_add_f32_e32 v40, v40, v44
	v_mul_f32_e32 v42, 0xbf788fa5, v11
	v_mov_b32_e32 v44, v13
	v_mul_f32_e32 v11, 0x3f116cb1, v11
	v_add_f32_e32 v39, v39, v43
	v_mov_b32_e32 v43, v42
	v_add_f32_e32 v41, v41, v45
	v_fmac_f32_e32 v44, 0x3f116cb1, v10
	v_mov_b32_e32 v45, v11
	v_fma_f32 v10, v10, s25, -v13
	v_sub_f32_e32 v13, v19, v25
	v_fmac_f32_e32 v43, 0xbe750f2a, v12
	v_fmac_f32_e32 v42, 0x3e750f2a, v12
	;; [unrolled: 1-line block ×3, first 2 shown]
	v_add_f32_e32 v8, v10, v8
	v_fmac_f32_e32 v11, 0x3f52af12, v12
	v_add_f32_e32 v10, v24, v18
	v_sub_f32_e32 v12, v18, v24
	v_mul_f32_e32 v18, 0xbf29c268, v13
	v_add_f32_e32 v9, v11, v9
	v_add_f32_e32 v11, v25, v19
	v_fma_f32 v19, v10, s28, -v18
	v_fmac_f32_e32 v18, 0xbf3f9e67, v10
	v_add_f32_e32 v14, v18, v14
	v_mul_f32_e32 v18, 0xbf3f9e67, v11
	v_mov_b32_e32 v24, v18
	v_fmac_f32_e32 v18, 0xbf29c268, v12
	v_add_f32_e32 v16, v18, v16
	v_mul_f32_e32 v18, 0x3f7e222b, v13
	v_add_f32_e32 v15, v19, v15
	v_fma_f32 v19, v10, s24, -v18
	v_fmac_f32_e32 v18, 0x3df6dbef, v10
	v_fmac_f32_e32 v24, 0x3f29c268, v12
	v_add_f32_e32 v17, v18, v17
	v_mul_f32_e32 v18, 0x3df6dbef, v11
	v_add_f32_e32 v24, v24, v26
	v_mov_b32_e32 v25, v18
	v_fmac_f32_e32 v18, 0x3f7e222b, v12
	v_mul_f32_e32 v26, 0xbf52af12, v13
	v_fmac_f32_e32 v25, 0xbf7e222b, v12
	v_add_f32_e32 v19, v19, v27
	v_add_f32_e32 v18, v18, v28
	v_fma_f32 v27, v10, s25, -v26
	v_fmac_f32_e32 v26, 0x3f116cb1, v10
	v_mul_f32_e32 v28, 0x3f116cb1, v11
	v_add_f32_e32 v25, v25, v29
	v_add_f32_e32 v26, v26, v30
	v_mov_b32_e32 v29, v28
	v_fmac_f32_e32 v28, 0xbf52af12, v12
	v_mul_f32_e32 v30, 0x3e750f2a, v13
	v_fmac_f32_e32 v29, 0x3f52af12, v12
	v_add_f32_e32 v27, v27, v31
	v_add_f32_e32 v28, v28, v32
	v_fma_f32 v31, v10, s29, -v30
	v_fmac_f32_e32 v30, 0xbf788fa5, v10
	v_mul_f32_e32 v32, 0xbf788fa5, v11
	v_add_f32_e32 v29, v29, v33
	v_add_f32_e32 v30, v30, v36
	v_mov_b32_e32 v33, v32
	v_fmac_f32_e32 v32, 0x3e750f2a, v12
	v_mul_f32_e32 v36, 0x3eedf032, v13
	v_add_f32_e32 v51, v51, v55
	v_add_f32_e32 v50, v50, v54
	;; [unrolled: 1-line block ×6, first 2 shown]
	v_fma_f32 v37, v10, s26, -v36
	v_fmac_f32_e32 v36, 0x3f62ad3f, v10
	v_mul_f32_e32 v38, 0x3f62ad3f, v11
	v_mul_f32_e32 v13, 0xbf6f5d39, v13
	;; [unrolled: 1-line block ×3, first 2 shown]
	v_add_f32_e32 v47, v47, v51
	v_add_f32_e32 v46, v46, v50
	;; [unrolled: 1-line block ×4, first 2 shown]
	v_fmac_f32_e32 v33, 0xbe750f2a, v12
	v_add_f32_e32 v36, v36, v40
	v_add_f32_e32 v37, v37, v41
	v_mov_b32_e32 v40, v13
	v_mov_b32_e32 v41, v11
	v_add_f32_e32 v43, v43, v47
	v_add_f32_e32 v42, v42, v46
	;; [unrolled: 1-line block ×5, first 2 shown]
	v_mov_b32_e32 v39, v38
	v_fmac_f32_e32 v38, 0x3eedf032, v12
	v_fmac_f32_e32 v40, 0xbeb58ec6, v10
	;; [unrolled: 1-line block ×3, first 2 shown]
	v_fma_f32 v10, v10, s27, -v13
	v_sub_f32_e32 v47, v21, v23
	v_fmac_f32_e32 v39, 0xbeedf032, v12
	v_add_f32_e32 v38, v38, v42
	v_add_f32_e32 v40, v40, v44
	;; [unrolled: 1-line block ×4, first 2 shown]
	v_fmac_f32_e32 v11, 0xbf6f5d39, v12
	v_add_f32_e32 v44, v22, v20
	v_add_f32_e32 v45, v23, v21
	v_mul_f32_e32 v8, 0xbe750f2a, v47
	v_add_f32_e32 v39, v39, v43
	v_add_f32_e32 v43, v11, v9
	v_sub_f32_e32 v46, v20, v22
	v_fma_f32 v10, v44, s29, -v8
	v_fmac_f32_e32 v8, 0xbf788fa5, v44
	v_mul_f32_e32 v11, 0xbf788fa5, v45
	v_mul_f32_e32 v12, 0x3eedf032, v47
	v_add_f32_e32 v8, v8, v14
	v_mov_b32_e32 v9, v11
	v_add_f32_e32 v10, v10, v15
	v_fmac_f32_e32 v11, 0xbe750f2a, v46
	v_fma_f32 v14, v44, s26, -v12
	v_mul_f32_e32 v15, 0x3f62ad3f, v45
	v_add_f32_e32 v11, v11, v16
	v_fmac_f32_e32 v12, 0x3f62ad3f, v44
	v_mov_b32_e32 v13, v15
	v_add_f32_e32 v14, v14, v19
	v_fmac_f32_e32 v15, 0x3eedf032, v46
	v_mul_f32_e32 v16, 0xbf29c268, v47
	v_mul_f32_e32 v19, 0xbf3f9e67, v45
	;; [unrolled: 1-line block ×3, first 2 shown]
	v_add_f32_e32 v12, v12, v17
	v_add_f32_e32 v15, v15, v18
	v_fma_f32 v18, v44, s28, -v16
	v_mov_b32_e32 v17, v19
	v_fma_f32 v22, v44, s25, -v20
	v_fmac_f32_e32 v20, 0x3f116cb1, v44
	v_fmac_f32_e32 v9, 0x3e750f2a, v46
	;; [unrolled: 1-line block ×4, first 2 shown]
	v_add_f32_e32 v18, v18, v27
	v_fmac_f32_e32 v19, 0xbf29c268, v46
	v_add_f32_e32 v20, v20, v30
	v_mul_f32_e32 v23, 0x3f116cb1, v45
	v_add_f32_e32 v22, v22, v31
	v_mul_f32_e32 v27, 0xbeb58ec6, v45
	v_mul_f32_e32 v30, 0x3f7e222b, v47
	;; [unrolled: 1-line block ×3, first 2 shown]
	v_add_f32_e32 v9, v9, v24
	v_add_f32_e32 v13, v13, v25
	v_fmac_f32_e32 v16, 0xbf3f9e67, v44
	v_add_f32_e32 v17, v17, v29
	v_add_f32_e32 v19, v19, v28
	v_mov_b32_e32 v21, v23
	v_mul_f32_e32 v24, 0xbf6f5d39, v47
	v_mov_b32_e32 v25, v27
	v_mov_b32_e32 v28, v30
	;; [unrolled: 1-line block ×3, first 2 shown]
	v_add_f32_e32 v16, v16, v26
	v_fmac_f32_e32 v21, 0xbf52af12, v46
	v_fmac_f32_e32 v23, 0x3f52af12, v46
	v_fma_f32 v26, v44, s27, -v24
	v_fmac_f32_e32 v24, 0xbeb58ec6, v44
	v_fmac_f32_e32 v25, 0x3f6f5d39, v46
	v_fmac_f32_e32 v27, 0xbf6f5d39, v46
	v_fmac_f32_e32 v28, 0x3df6dbef, v44
	v_fmac_f32_e32 v29, 0xbf7e222b, v46
	v_fma_f32 v30, v44, s24, -v30
	v_fmac_f32_e32 v31, 0x3f7e222b, v46
	v_add_f32_e32 v21, v21, v33
	v_add_f32_e32 v23, v23, v32
	;; [unrolled: 1-line block ×10, first 2 shown]
	ds_write2_b64 v0, v[34:35], v[8:9] offset1:1
	ds_write2_b64 v0, v[12:13], v[16:17] offset0:2 offset1:3
	ds_write2_b64 v0, v[20:21], v[24:25] offset0:4 offset1:5
	;; [unrolled: 1-line block ×5, first 2 shown]
	ds_write_b64 v0, v[10:11] offset:96
	s_waitcnt lgkmcnt(0)
	; wave barrier
	s_waitcnt lgkmcnt(0)
	ds_read2_b64 v[8:11], v0 offset1:1
	ds_read2_b64 v[12:15], v0 offset0:2 offset1:3
	v_mad_u64_u32 v[18:19], s[2:3], s3, v1, v[3:4]
	s_mov_b32 s2, 0x13b13b14
	s_waitcnt lgkmcnt(1)
	v_mul_f32_e32 v16, s37, v9
	v_mul_f32_e32 v1, s37, v8
	v_fmac_f32_e32 v16, s36, v8
	v_fma_f32 v1, s36, v9, -v1
	v_cvt_f64_f32_e32 v[16:17], v16
	v_cvt_f64_f32_e32 v[8:9], v1
	s_mov_b32 s3, 0x3fb3b13b
	v_mul_f32_e32 v1, s39, v11
	v_mul_f64 v[16:17], v[16:17], s[2:3]
	v_mul_f64 v[8:9], v[8:9], s[2:3]
	v_fmac_f32_e32 v1, s38, v10
	v_mov_b32_e32 v3, v18
	v_cvt_f64_f32_e32 v[18:19], v1
	v_mul_f32_e32 v1, s39, v10
	v_fma_f32 v1, s38, v11, -v1
	v_cvt_f64_f32_e32 v[10:11], v1
	v_cvt_f32_f64_e32 v16, v[16:17]
	v_cvt_f32_f64_e32 v17, v[8:9]
	v_mul_f64 v[8:9], v[18:19], s[2:3]
	v_mul_f64 v[10:11], v[10:11], s[2:3]
	v_lshlrev_b64 v[1:2], 3, v[2:3]
	v_mov_b32_e32 v3, s5
	v_add_co_u32_e32 v1, vcc, s4, v1
	v_addc_co_u32_e32 v2, vcc, v3, v2, vcc
	v_cvt_f32_f64_e32 v8, v[8:9]
	v_cvt_f32_f64_e32 v9, v[10:11]
	s_waitcnt lgkmcnt(0)
	v_mul_f32_e32 v10, s41, v13
	s_lshl_b64 s[4:5], s[0:1], 3
	v_fmac_f32_e32 v10, s40, v12
	global_store_dwordx2 v[1:2], v[16:17], off
	v_mov_b32_e32 v3, s5
	v_cvt_f64_f32_e32 v[10:11], v10
	v_add_co_u32_e32 v16, vcc, s4, v1
	v_addc_co_u32_e32 v17, vcc, v2, v3, vcc
	v_mul_f32_e32 v3, s43, v15
	v_fmac_f32_e32 v3, s42, v14
	v_mul_f32_e32 v12, s41, v12
	v_cvt_f64_f32_e32 v[18:19], v3
	v_mul_f32_e32 v3, s43, v14
	v_fma_f32 v12, s40, v13, -v12
	v_mul_f64 v[10:11], v[10:11], s[2:3]
	v_fma_f32 v3, s42, v15, -v3
	v_cvt_f64_f32_e32 v[12:13], v12
	v_cvt_f64_f32_e32 v[14:15], v3
	v_mul_f64 v[18:19], v[18:19], s[2:3]
	global_store_dwordx2 v[16:17], v[8:9], off
	v_mul_f64 v[12:13], v[12:13], s[2:3]
	v_mul_f64 v[14:15], v[14:15], s[2:3]
	v_cvt_f32_f64_e32 v16, v[10:11]
	ds_read2_b64 v[8:11], v0 offset0:4 offset1:5
	v_mad_u64_u32 v[20:21], s[6:7], s0, 24, v[1:2]
	v_cvt_f32_f64_e32 v18, v[18:19]
	s_lshl_b64 s[4:5], s[0:1], 4
	v_cvt_f32_f64_e32 v17, v[12:13]
	v_cvt_f32_f64_e32 v19, v[14:15]
	ds_read2_b64 v[12:15], v0 offset0:6 offset1:7
	v_mov_b32_e32 v3, v21
	s_waitcnt lgkmcnt(1)
	v_mul_f32_e32 v21, s45, v9
	v_fmac_f32_e32 v21, s44, v8
	v_mul_f32_e32 v8, s45, v8
	v_fma_f32 v8, s44, v9, -v8
	v_cvt_f64_f32_e32 v[8:9], v8
	v_cvt_f64_f32_e32 v[21:22], v21
	v_mad_u64_u32 v[23:24], s[6:7], s1, 24, v[3:4]
	v_mul_f64 v[8:9], v[8:9], s[2:3]
	v_mul_f64 v[24:25], v[21:22], s[2:3]
	v_mov_b32_e32 v26, s5
	v_add_co_u32_e32 v21, vcc, s4, v1
	v_addc_co_u32_e32 v22, vcc, v2, v26, vcc
	s_lshl_b64 s[4:5], s[0:1], 5
	global_store_dwordx2 v[21:22], v[16:17], off
	v_cvt_f32_f64_e32 v17, v[8:9]
	v_mov_b32_e32 v3, s5
	v_add_co_u32_e32 v8, vcc, s4, v1
	v_addc_co_u32_e32 v9, vcc, v2, v3, vcc
	v_mul_f32_e32 v3, s47, v11
	v_mov_b32_e32 v21, v23
	v_fmac_f32_e32 v3, s46, v10
	global_store_dwordx2 v[20:21], v[18:19], off
	v_cvt_f64_f32_e32 v[18:19], v3
	v_mul_f32_e32 v3, s47, v10
	v_fma_f32 v3, s46, v11, -v3
	v_cvt_f32_f64_e32 v16, v[24:25]
	v_cvt_f64_f32_e32 v[10:11], v3
	v_mad_u64_u32 v[20:21], s[4:5], s0, 40, v[1:2]
	global_store_dwordx2 v[8:9], v[16:17], off
	v_mul_f64 v[8:9], v[18:19], s[2:3]
	v_mul_f64 v[10:11], v[10:11], s[2:3]
	s_waitcnt lgkmcnt(0)
	v_mul_f32_e32 v16, s49, v13
	v_fmac_f32_e32 v16, s48, v12
	v_mul_f32_e32 v12, s49, v12
	v_fma_f32 v12, s48, v13, -v12
	v_mov_b32_e32 v3, v21
	v_cvt_f64_f32_e32 v[16:17], v16
	v_cvt_f64_f32_e32 v[12:13], v12
	v_mad_u64_u32 v[18:19], s[4:5], s1, 40, v[3:4]
	v_cvt_f32_f64_e32 v8, v[8:9]
	v_cvt_f32_f64_e32 v9, v[10:11]
	v_mul_f64 v[16:17], v[16:17], s[2:3]
	v_mul_f64 v[12:13], v[12:13], s[2:3]
	v_mov_b32_e32 v21, v18
	v_mad_u64_u32 v[18:19], s[4:5], s0, 48, v[1:2]
	global_store_dwordx2 v[20:21], v[8:9], off
	v_mul_f32_e32 v8, s51, v15
	v_fmac_f32_e32 v8, s50, v14
	v_cvt_f64_f32_e32 v[8:9], v8
	v_mov_b32_e32 v3, v19
	v_mul_f32_e32 v10, s51, v14
	v_fma_f32 v10, s50, v15, -v10
	v_mad_u64_u32 v[19:20], s[4:5], s1, 48, v[3:4]
	v_cvt_f32_f64_e32 v16, v[16:17]
	v_cvt_f32_f64_e32 v17, v[12:13]
	v_cvt_f64_f32_e32 v[12:13], v10
	v_mul_f64 v[20:21], v[8:9], s[2:3]
	ds_read2_b64 v[8:11], v0 offset0:8 offset1:9
	v_mad_u64_u32 v[24:25], s[4:5], s0, 56, v[1:2]
	v_mul_f64 v[22:23], v[12:13], s[2:3]
	ds_read2_b64 v[12:15], v0 offset0:10 offset1:11
	s_waitcnt lgkmcnt(1)
	v_mul_f32_e32 v3, s9, v9
	v_fmac_f32_e32 v3, s8, v8
	v_cvt_f64_f32_e32 v[26:27], v3
	v_mul_f32_e32 v3, s9, v8
	v_fma_f32 v3, s8, v9, -v3
	v_cvt_f64_f32_e32 v[8:9], v3
	v_mov_b32_e32 v3, v25
	v_mad_u64_u32 v[28:29], s[4:5], s1, 56, v[3:4]
	v_mul_f64 v[8:9], v[8:9], s[2:3]
	v_mul_f32_e32 v3, s11, v11
	v_fmac_f32_e32 v3, s10, v10
	global_store_dwordx2 v[18:19], v[16:17], off
	s_waitcnt lgkmcnt(0)
	v_mul_f32_e32 v18, s13, v13
	v_fmac_f32_e32 v18, s12, v12
	v_mul_f32_e32 v12, s13, v12
	v_fma_f32 v12, s12, v13, -v12
	v_cvt_f32_f64_e32 v17, v[8:9]
	v_cvt_f64_f32_e32 v[8:9], v3
	v_mul_f32_e32 v3, s11, v10
	v_fma_f32 v3, s10, v11, -v3
	v_cvt_f64_f32_e32 v[10:11], v3
	v_mul_f64 v[26:27], v[26:27], s[2:3]
	v_mul_f64 v[8:9], v[8:9], s[2:3]
	v_cvt_f64_f32_e32 v[18:19], v18
	v_mul_f64 v[10:11], v[10:11], s[2:3]
	v_cvt_f64_f32_e32 v[12:13], v12
	v_cvt_f32_f64_e32 v20, v[20:21]
	v_cvt_f32_f64_e32 v21, v[22:23]
	v_mov_b32_e32 v25, v28
	s_lshl_b64 s[4:5], s[0:1], 6
	v_mul_f64 v[18:19], v[18:19], s[2:3]
	v_mul_f64 v[12:13], v[12:13], s[2:3]
	global_store_dwordx2 v[24:25], v[20:21], off
	v_mov_b32_e32 v3, s5
	v_add_co_u32_e32 v20, vcc, s4, v1
	v_addc_co_u32_e32 v21, vcc, v2, v3, vcc
	v_mul_f32_e32 v3, s15, v15
	v_mad_u64_u32 v[22:23], s[4:5], s0, v6, v[1:2]
	v_fmac_f32_e32 v3, s14, v14
	v_cvt_f32_f64_e32 v16, v[26:27]
	v_cvt_f32_f64_e32 v8, v[8:9]
	;; [unrolled: 1-line block ×3, first 2 shown]
	v_cvt_f64_f32_e32 v[10:11], v3
	v_mul_f32_e32 v3, s15, v14
	v_fma_f32 v3, s14, v15, -v3
	ds_read_b64 v[14:15], v0 offset:96
	s_mul_i32 s4, s1, 0x48
	v_add_u32_e32 v23, s4, v23
	v_mad_u64_u32 v[6:7], s[4:5], s0, v7, v[1:2]
	global_store_dwordx2 v[20:21], v[16:17], off
	global_store_dwordx2 v[22:23], v[8:9], off
	v_cvt_f32_f64_e32 v8, v[18:19]
	v_cvt_f32_f64_e32 v9, v[12:13]
	s_mul_i32 s4, s1, 0x50
	v_cvt_f64_f32_e32 v[12:13], v3
	s_waitcnt lgkmcnt(0)
	v_mul_f32_e32 v0, s17, v15
	v_add_u32_e32 v7, s4, v7
	v_fmac_f32_e32 v0, s16, v14
	global_store_dwordx2 v[6:7], v[8:9], off
	v_mul_f64 v[6:7], v[10:11], s[2:3]
	v_cvt_f64_f32_e32 v[10:11], v0
	v_mul_f32_e32 v0, s17, v14
	v_fma_f32 v0, s16, v15, -v0
	v_mul_f64 v[8:9], v[12:13], s[2:3]
	v_cvt_f64_f32_e32 v[12:13], v0
	v_mul_f64 v[10:11], v[10:11], s[2:3]
	v_mad_u64_u32 v[3:4], s[4:5], s0, v4, v[1:2]
	v_mul_f64 v[12:13], v[12:13], s[2:3]
	s_mul_i32 s2, s1, 0x58
	v_cvt_f32_f64_e32 v6, v[6:7]
	v_cvt_f32_f64_e32 v7, v[8:9]
	v_add_u32_e32 v4, s2, v4
	v_mad_u64_u32 v[8:9], s[2:3], s0, v5, v[1:2]
	v_cvt_f32_f64_e32 v0, v[10:11]
	v_cvt_f32_f64_e32 v1, v[12:13]
	s_mul_i32 s0, s1, 0x60
	v_add_u32_e32 v9, s0, v9
	global_store_dwordx2 v[3:4], v[6:7], off
	global_store_dwordx2 v[8:9], v[0:1], off
.LBB0_2:
	s_endpgm
	.section	.rodata,"a",@progbits
	.p2align	6, 0x0
	.amdhsa_kernel bluestein_single_fwd_len13_dim1_sp_op_CI_CI
		.amdhsa_group_segment_fixed_size 6656
		.amdhsa_private_segment_fixed_size 0
		.amdhsa_kernarg_size 104
		.amdhsa_user_sgpr_count 6
		.amdhsa_user_sgpr_private_segment_buffer 1
		.amdhsa_user_sgpr_dispatch_ptr 0
		.amdhsa_user_sgpr_queue_ptr 0
		.amdhsa_user_sgpr_kernarg_segment_ptr 1
		.amdhsa_user_sgpr_dispatch_id 0
		.amdhsa_user_sgpr_flat_scratch_init 0
		.amdhsa_user_sgpr_private_segment_size 0
		.amdhsa_uses_dynamic_stack 0
		.amdhsa_system_sgpr_private_segment_wavefront_offset 0
		.amdhsa_system_sgpr_workgroup_id_x 1
		.amdhsa_system_sgpr_workgroup_id_y 0
		.amdhsa_system_sgpr_workgroup_id_z 0
		.amdhsa_system_sgpr_workgroup_info 0
		.amdhsa_system_vgpr_workitem_id 0
		.amdhsa_next_free_vgpr 58
		.amdhsa_next_free_sgpr 68
		.amdhsa_reserve_vcc 1
		.amdhsa_reserve_flat_scratch 0
		.amdhsa_float_round_mode_32 0
		.amdhsa_float_round_mode_16_64 0
		.amdhsa_float_denorm_mode_32 3
		.amdhsa_float_denorm_mode_16_64 3
		.amdhsa_dx10_clamp 1
		.amdhsa_ieee_mode 1
		.amdhsa_fp16_overflow 0
		.amdhsa_exception_fp_ieee_invalid_op 0
		.amdhsa_exception_fp_denorm_src 0
		.amdhsa_exception_fp_ieee_div_zero 0
		.amdhsa_exception_fp_ieee_overflow 0
		.amdhsa_exception_fp_ieee_underflow 0
		.amdhsa_exception_fp_ieee_inexact 0
		.amdhsa_exception_int_div_zero 0
	.end_amdhsa_kernel
	.text
.Lfunc_end0:
	.size	bluestein_single_fwd_len13_dim1_sp_op_CI_CI, .Lfunc_end0-bluestein_single_fwd_len13_dim1_sp_op_CI_CI
                                        ; -- End function
	.section	.AMDGPU.csdata,"",@progbits
; Kernel info:
; codeLenInByte = 7988
; NumSgprs: 72
; NumVgprs: 58
; ScratchSize: 0
; MemoryBound: 0
; FloatMode: 240
; IeeeMode: 1
; LDSByteSize: 6656 bytes/workgroup (compile time only)
; SGPRBlocks: 8
; VGPRBlocks: 14
; NumSGPRsForWavesPerEU: 72
; NumVGPRsForWavesPerEU: 58
; Occupancy: 3
; WaveLimiterHint : 1
; COMPUTE_PGM_RSRC2:SCRATCH_EN: 0
; COMPUTE_PGM_RSRC2:USER_SGPR: 6
; COMPUTE_PGM_RSRC2:TRAP_HANDLER: 0
; COMPUTE_PGM_RSRC2:TGID_X_EN: 1
; COMPUTE_PGM_RSRC2:TGID_Y_EN: 0
; COMPUTE_PGM_RSRC2:TGID_Z_EN: 0
; COMPUTE_PGM_RSRC2:TIDIG_COMP_CNT: 0
	.type	__hip_cuid_cfb459d462909011,@object ; @__hip_cuid_cfb459d462909011
	.section	.bss,"aw",@nobits
	.globl	__hip_cuid_cfb459d462909011
__hip_cuid_cfb459d462909011:
	.byte	0                               ; 0x0
	.size	__hip_cuid_cfb459d462909011, 1

	.ident	"AMD clang version 19.0.0git (https://github.com/RadeonOpenCompute/llvm-project roc-6.4.0 25133 c7fe45cf4b819c5991fe208aaa96edf142730f1d)"
	.section	".note.GNU-stack","",@progbits
	.addrsig
	.addrsig_sym __hip_cuid_cfb459d462909011
	.amdgpu_metadata
---
amdhsa.kernels:
  - .args:
      - .actual_access:  read_only
        .address_space:  global
        .offset:         0
        .size:           8
        .value_kind:     global_buffer
      - .actual_access:  read_only
        .address_space:  global
        .offset:         8
        .size:           8
        .value_kind:     global_buffer
      - .actual_access:  read_only
        .address_space:  global
        .offset:         16
        .size:           8
        .value_kind:     global_buffer
      - .actual_access:  read_only
        .address_space:  global
        .offset:         24
        .size:           8
        .value_kind:     global_buffer
      - .actual_access:  read_only
        .address_space:  global
        .offset:         32
        .size:           8
        .value_kind:     global_buffer
      - .offset:         40
        .size:           8
        .value_kind:     by_value
      - .address_space:  global
        .offset:         48
        .size:           8
        .value_kind:     global_buffer
      - .address_space:  global
        .offset:         56
        .size:           8
        .value_kind:     global_buffer
      - .address_space:  global
        .offset:         64
        .size:           8
        .value_kind:     global_buffer
      - .address_space:  global
        .offset:         72
        .size:           8
        .value_kind:     global_buffer
      - .offset:         80
        .size:           4
        .value_kind:     by_value
      - .address_space:  global
        .offset:         88
        .size:           8
        .value_kind:     global_buffer
      - .address_space:  global
        .offset:         96
        .size:           8
        .value_kind:     global_buffer
    .group_segment_fixed_size: 6656
    .kernarg_segment_align: 8
    .kernarg_segment_size: 104
    .language:       OpenCL C
    .language_version:
      - 2
      - 0
    .max_flat_workgroup_size: 64
    .name:           bluestein_single_fwd_len13_dim1_sp_op_CI_CI
    .private_segment_fixed_size: 0
    .sgpr_count:     72
    .sgpr_spill_count: 0
    .symbol:         bluestein_single_fwd_len13_dim1_sp_op_CI_CI.kd
    .uniform_work_group_size: 1
    .uses_dynamic_stack: false
    .vgpr_count:     58
    .vgpr_spill_count: 0
    .wavefront_size: 64
amdhsa.target:   amdgcn-amd-amdhsa--gfx906
amdhsa.version:
  - 1
  - 2
...

	.end_amdgpu_metadata
